;; amdgpu-corpus repo=ROCm/rocFFT kind=compiled arch=gfx906 opt=O3
	.text
	.amdgcn_target "amdgcn-amd-amdhsa--gfx906"
	.amdhsa_code_object_version 6
	.protected	fft_rtc_fwd_len390_factors_13_3_10_wgs_117_tpt_39_half_ip_CI_unitstride_sbrr_C2R_dirReg ; -- Begin function fft_rtc_fwd_len390_factors_13_3_10_wgs_117_tpt_39_half_ip_CI_unitstride_sbrr_C2R_dirReg
	.globl	fft_rtc_fwd_len390_factors_13_3_10_wgs_117_tpt_39_half_ip_CI_unitstride_sbrr_C2R_dirReg
	.p2align	8
	.type	fft_rtc_fwd_len390_factors_13_3_10_wgs_117_tpt_39_half_ip_CI_unitstride_sbrr_C2R_dirReg,@function
fft_rtc_fwd_len390_factors_13_3_10_wgs_117_tpt_39_half_ip_CI_unitstride_sbrr_C2R_dirReg: ; @fft_rtc_fwd_len390_factors_13_3_10_wgs_117_tpt_39_half_ip_CI_unitstride_sbrr_C2R_dirReg
; %bb.0:
	s_load_dwordx2 s[2:3], s[4:5], 0x50
	s_load_dwordx4 s[8:11], s[4:5], 0x0
	s_load_dwordx2 s[12:13], s[4:5], 0x18
	v_mul_u32_u24_e32 v1, 0x691, v0
	v_lshrrev_b32_e32 v1, 16, v1
	v_mad_u64_u32 v[1:2], s[0:1], s6, 3, v[1:2]
	v_mov_b32_e32 v5, 0
	s_waitcnt lgkmcnt(0)
	v_cmp_lt_u64_e64 s[0:1], s[10:11], 2
	v_mov_b32_e32 v2, v5
	v_mov_b32_e32 v3, 0
	;; [unrolled: 1-line block ×3, first 2 shown]
	s_and_b64 vcc, exec, s[0:1]
	v_mov_b32_e32 v4, 0
	v_mov_b32_e32 v9, v1
	s_cbranch_vccnz .LBB0_8
; %bb.1:
	s_load_dwordx2 s[0:1], s[4:5], 0x10
	s_add_u32 s6, s12, 8
	s_addc_u32 s7, s13, 0
	v_mov_b32_e32 v3, 0
	v_mov_b32_e32 v8, v2
	s_waitcnt lgkmcnt(0)
	s_add_u32 s16, s0, 8
	s_mov_b64 s[14:15], 1
	v_mov_b32_e32 v4, 0
	s_addc_u32 s17, s1, 0
	v_mov_b32_e32 v7, v1
.LBB0_2:                                ; =>This Inner Loop Header: Depth=1
	s_load_dwordx2 s[18:19], s[16:17], 0x0
                                        ; implicit-def: $vgpr9_vgpr10
	s_waitcnt lgkmcnt(0)
	v_or_b32_e32 v6, s19, v8
	v_cmp_ne_u64_e32 vcc, 0, v[5:6]
	s_and_saveexec_b64 s[0:1], vcc
	s_xor_b64 s[20:21], exec, s[0:1]
	s_cbranch_execz .LBB0_4
; %bb.3:                                ;   in Loop: Header=BB0_2 Depth=1
	v_cvt_f32_u32_e32 v2, s18
	v_cvt_f32_u32_e32 v6, s19
	s_sub_u32 s0, 0, s18
	s_subb_u32 s1, 0, s19
	v_mac_f32_e32 v2, 0x4f800000, v6
	v_rcp_f32_e32 v2, v2
	v_mul_f32_e32 v2, 0x5f7ffffc, v2
	v_mul_f32_e32 v6, 0x2f800000, v2
	v_trunc_f32_e32 v6, v6
	v_mac_f32_e32 v2, 0xcf800000, v6
	v_cvt_u32_f32_e32 v6, v6
	v_cvt_u32_f32_e32 v2, v2
	v_mul_lo_u32 v9, s0, v6
	v_mul_hi_u32 v10, s0, v2
	v_mul_lo_u32 v12, s1, v2
	v_mul_lo_u32 v11, s0, v2
	v_add_u32_e32 v9, v10, v9
	v_add_u32_e32 v9, v9, v12
	v_mul_hi_u32 v10, v2, v11
	v_mul_lo_u32 v12, v2, v9
	v_mul_hi_u32 v14, v2, v9
	v_mul_hi_u32 v13, v6, v11
	v_mul_lo_u32 v11, v6, v11
	v_mul_hi_u32 v15, v6, v9
	v_add_co_u32_e32 v10, vcc, v10, v12
	v_addc_co_u32_e32 v12, vcc, 0, v14, vcc
	v_mul_lo_u32 v9, v6, v9
	v_add_co_u32_e32 v10, vcc, v10, v11
	v_addc_co_u32_e32 v10, vcc, v12, v13, vcc
	v_addc_co_u32_e32 v11, vcc, 0, v15, vcc
	v_add_co_u32_e32 v9, vcc, v10, v9
	v_addc_co_u32_e32 v10, vcc, 0, v11, vcc
	v_add_co_u32_e32 v2, vcc, v2, v9
	v_addc_co_u32_e32 v6, vcc, v6, v10, vcc
	v_mul_lo_u32 v9, s0, v6
	v_mul_hi_u32 v10, s0, v2
	v_mul_lo_u32 v11, s1, v2
	v_mul_lo_u32 v12, s0, v2
	v_add_u32_e32 v9, v10, v9
	v_add_u32_e32 v9, v9, v11
	v_mul_lo_u32 v13, v2, v9
	v_mul_hi_u32 v14, v2, v12
	v_mul_hi_u32 v15, v2, v9
	;; [unrolled: 1-line block ×3, first 2 shown]
	v_mul_lo_u32 v12, v6, v12
	v_mul_hi_u32 v10, v6, v9
	v_add_co_u32_e32 v13, vcc, v14, v13
	v_addc_co_u32_e32 v14, vcc, 0, v15, vcc
	v_mul_lo_u32 v9, v6, v9
	v_add_co_u32_e32 v12, vcc, v13, v12
	v_addc_co_u32_e32 v11, vcc, v14, v11, vcc
	v_addc_co_u32_e32 v10, vcc, 0, v10, vcc
	v_add_co_u32_e32 v9, vcc, v11, v9
	v_addc_co_u32_e32 v10, vcc, 0, v10, vcc
	v_add_co_u32_e32 v2, vcc, v2, v9
	v_addc_co_u32_e32 v6, vcc, v6, v10, vcc
	v_mad_u64_u32 v[9:10], s[0:1], v7, v6, 0
	v_mul_hi_u32 v11, v7, v2
	v_add_co_u32_e32 v13, vcc, v11, v9
	v_addc_co_u32_e32 v14, vcc, 0, v10, vcc
	v_mad_u64_u32 v[9:10], s[0:1], v8, v2, 0
	v_mad_u64_u32 v[11:12], s[0:1], v8, v6, 0
	v_add_co_u32_e32 v2, vcc, v13, v9
	v_addc_co_u32_e32 v2, vcc, v14, v10, vcc
	v_addc_co_u32_e32 v6, vcc, 0, v12, vcc
	v_add_co_u32_e32 v2, vcc, v2, v11
	v_addc_co_u32_e32 v6, vcc, 0, v6, vcc
	v_mul_lo_u32 v11, s19, v2
	v_mul_lo_u32 v12, s18, v6
	v_mad_u64_u32 v[9:10], s[0:1], s18, v2, 0
	v_add3_u32 v10, v10, v12, v11
	v_sub_u32_e32 v11, v8, v10
	v_mov_b32_e32 v12, s19
	v_sub_co_u32_e32 v9, vcc, v7, v9
	v_subb_co_u32_e64 v11, s[0:1], v11, v12, vcc
	v_subrev_co_u32_e64 v12, s[0:1], s18, v9
	v_subbrev_co_u32_e64 v11, s[0:1], 0, v11, s[0:1]
	v_cmp_le_u32_e64 s[0:1], s19, v11
	v_cndmask_b32_e64 v13, 0, -1, s[0:1]
	v_cmp_le_u32_e64 s[0:1], s18, v12
	v_cndmask_b32_e64 v12, 0, -1, s[0:1]
	v_cmp_eq_u32_e64 s[0:1], s19, v11
	v_cndmask_b32_e64 v11, v13, v12, s[0:1]
	v_add_co_u32_e64 v12, s[0:1], 2, v2
	v_addc_co_u32_e64 v13, s[0:1], 0, v6, s[0:1]
	v_add_co_u32_e64 v14, s[0:1], 1, v2
	v_addc_co_u32_e64 v15, s[0:1], 0, v6, s[0:1]
	v_subb_co_u32_e32 v10, vcc, v8, v10, vcc
	v_cmp_ne_u32_e64 s[0:1], 0, v11
	v_cmp_le_u32_e32 vcc, s19, v10
	v_cndmask_b32_e64 v11, v15, v13, s[0:1]
	v_cndmask_b32_e64 v13, 0, -1, vcc
	v_cmp_le_u32_e32 vcc, s18, v9
	v_cndmask_b32_e64 v9, 0, -1, vcc
	v_cmp_eq_u32_e32 vcc, s19, v10
	v_cndmask_b32_e32 v9, v13, v9, vcc
	v_cmp_ne_u32_e32 vcc, 0, v9
	v_cndmask_b32_e32 v10, v6, v11, vcc
	v_cndmask_b32_e64 v6, v14, v12, s[0:1]
	v_cndmask_b32_e32 v9, v2, v6, vcc
.LBB0_4:                                ;   in Loop: Header=BB0_2 Depth=1
	s_andn2_saveexec_b64 s[0:1], s[20:21]
	s_cbranch_execz .LBB0_6
; %bb.5:                                ;   in Loop: Header=BB0_2 Depth=1
	v_cvt_f32_u32_e32 v2, s18
	s_sub_i32 s20, 0, s18
	v_rcp_iflag_f32_e32 v2, v2
	v_mul_f32_e32 v2, 0x4f7ffffe, v2
	v_cvt_u32_f32_e32 v2, v2
	v_mul_lo_u32 v6, s20, v2
	v_mul_hi_u32 v6, v2, v6
	v_add_u32_e32 v2, v2, v6
	v_mul_hi_u32 v2, v7, v2
	v_mul_lo_u32 v6, v2, s18
	v_add_u32_e32 v9, 1, v2
	v_sub_u32_e32 v6, v7, v6
	v_subrev_u32_e32 v10, s18, v6
	v_cmp_le_u32_e32 vcc, s18, v6
	v_cndmask_b32_e32 v6, v6, v10, vcc
	v_cndmask_b32_e32 v2, v2, v9, vcc
	v_add_u32_e32 v9, 1, v2
	v_cmp_le_u32_e32 vcc, s18, v6
	v_cndmask_b32_e32 v9, v2, v9, vcc
	v_mov_b32_e32 v10, v5
.LBB0_6:                                ;   in Loop: Header=BB0_2 Depth=1
	s_or_b64 exec, exec, s[0:1]
	v_mul_lo_u32 v2, v10, s18
	v_mul_lo_u32 v6, v9, s19
	v_mad_u64_u32 v[11:12], s[0:1], v9, s18, 0
	s_load_dwordx2 s[0:1], s[6:7], 0x0
	s_add_u32 s14, s14, 1
	v_add3_u32 v2, v12, v6, v2
	v_sub_co_u32_e32 v6, vcc, v7, v11
	v_subb_co_u32_e32 v2, vcc, v8, v2, vcc
	s_waitcnt lgkmcnt(0)
	v_mul_lo_u32 v2, s0, v2
	v_mul_lo_u32 v7, s1, v6
	v_mad_u64_u32 v[3:4], s[0:1], s0, v6, v[3:4]
	s_addc_u32 s15, s15, 0
	s_add_u32 s6, s6, 8
	v_add3_u32 v4, v7, v4, v2
	v_mov_b32_e32 v6, s10
	v_mov_b32_e32 v7, s11
	s_addc_u32 s7, s7, 0
	v_cmp_ge_u64_e32 vcc, s[14:15], v[6:7]
	s_add_u32 s16, s16, 8
	s_addc_u32 s17, s17, 0
	s_cbranch_vccnz .LBB0_8
; %bb.7:                                ;   in Loop: Header=BB0_2 Depth=1
	v_mov_b32_e32 v7, v9
	v_mov_b32_e32 v8, v10
	s_branch .LBB0_2
.LBB0_8:
	s_lshl_b64 s[0:1], s[10:11], 3
	s_add_u32 s0, s12, s0
	s_addc_u32 s1, s13, s1
	s_load_dwordx2 s[0:1], s[0:1], 0x0
	s_mov_b32 s6, 0xaaaaaaab
	v_mul_hi_u32 v5, v1, s6
	s_waitcnt lgkmcnt(0)
	v_mul_lo_u32 v6, s0, v10
	v_mul_lo_u32 v7, s1, v9
	v_mad_u64_u32 v[2:3], s[0:1], s0, v9, v[3:4]
	s_load_dwordx2 s[0:1], s[4:5], 0x20
	s_mov_b32 s4, 0x6906907
	v_lshrrev_b32_e32 v4, 1, v5
	v_mul_hi_u32 v5, v0, s4
	v_lshl_add_u32 v4, v4, 1, v4
	v_add3_u32 v3, v7, v3, v6
	v_sub_u32_e32 v1, v1, v4
	v_mul_u32_u24_e32 v6, 0x187, v1
	s_waitcnt lgkmcnt(0)
	v_cmp_gt_u64_e32 vcc, s[0:1], v[9:10]
	v_mul_u32_u24_e32 v1, 39, v5
	v_lshlrev_b64 v[2:3], 2, v[2:3]
	v_sub_u32_e32 v0, v0, v1
	v_lshlrev_b32_e32 v20, 2, v6
	s_and_saveexec_b64 s[4:5], vcc
	s_cbranch_execz .LBB0_12
; %bb.9:
	v_mov_b32_e32 v1, 0
	v_mov_b32_e32 v5, s3
	v_add_co_u32_e64 v4, s[0:1], s2, v2
	v_lshlrev_b64 v[7:8], 2, v[0:1]
	v_addc_co_u32_e64 v5, s[0:1], v5, v3, s[0:1]
	v_add_co_u32_e64 v7, s[0:1], v4, v7
	v_addc_co_u32_e64 v8, s[0:1], v5, v8, s[0:1]
	global_load_dword v9, v[7:8], off
	global_load_dword v10, v[7:8], off offset:156
	global_load_dword v11, v[7:8], off offset:312
	;; [unrolled: 1-line block ×9, first 2 shown]
	v_lshlrev_b32_e32 v1, 2, v0
	v_add3_u32 v1, 0, v20, v1
	v_cmp_eq_u32_e64 s[0:1], 38, v0
	v_add_u32_e32 v7, 0x200, v1
	v_add_u32_e32 v8, 0x400, v1
	s_waitcnt vmcnt(8)
	ds_write2_b32 v1, v9, v10 offset1:39
	s_waitcnt vmcnt(6)
	ds_write2_b32 v1, v11, v12 offset0:78 offset1:117
	s_waitcnt vmcnt(4)
	ds_write2_b32 v1, v13, v14 offset0:156 offset1:195
	;; [unrolled: 2-line block ×4, first 2 shown]
	s_and_saveexec_b64 s[6:7], s[0:1]
	s_cbranch_execz .LBB0_11
; %bb.10:
	global_load_dword v0, v[4:5], off offset:1560
	s_waitcnt vmcnt(0)
	ds_write_b32 v1, v0 offset:1408
	v_mov_b32_e32 v0, 38
.LBB0_11:
	s_or_b64 exec, exec, s[6:7]
.LBB0_12:
	s_or_b64 exec, exec, s[4:5]
	v_lshl_add_u32 v18, v6, 2, 0
	v_lshlrev_b32_e32 v1, 2, v0
	v_add_u32_e32 v19, v18, v1
	s_waitcnt lgkmcnt(0)
	s_barrier
	v_sub_u32_e32 v7, v18, v1
	ds_read_u16 v10, v19
	ds_read_u16 v11, v7 offset:1560
	v_cmp_ne_u32_e64 s[0:1], 0, v0
                                        ; implicit-def: $vgpr4_vgpr5
	s_waitcnt lgkmcnt(0)
	v_add_f16_e32 v8, v11, v10
	v_sub_f16_e32 v9, v10, v11
	s_and_saveexec_b64 s[4:5], s[0:1]
	s_xor_b64 s[4:5], exec, s[4:5]
	s_cbranch_execz .LBB0_14
; %bb.13:
	v_mov_b32_e32 v1, 0
	v_lshlrev_b64 v[4:5], 2, v[0:1]
	v_mov_b32_e32 v8, s9
	v_add_co_u32_e64 v4, s[0:1], s8, v4
	v_addc_co_u32_e64 v5, s[0:1], v8, v5, s[0:1]
	global_load_dword v4, v[4:5], off offset:1508
	ds_read_u16 v5, v7 offset:1562
	ds_read_u16 v8, v19 offset:2
	v_add_f16_e32 v9, v11, v10
	v_sub_f16_e32 v10, v10, v11
	s_waitcnt lgkmcnt(0)
	v_add_f16_e32 v11, v5, v8
	v_sub_f16_e32 v5, v8, v5
	s_waitcnt vmcnt(0)
	v_lshrrev_b32_e32 v8, 16, v4
	v_fma_f16 v12, v10, v8, v9
	v_fma_f16 v13, v11, v8, v5
	v_fma_f16 v14, -v10, v8, v9
	v_fma_f16 v5, v11, v8, -v5
	v_fma_f16 v8, -v4, v11, v12
	v_fma_f16 v9, v10, v4, v13
	v_fma_f16 v11, v4, v11, v14
	;; [unrolled: 1-line block ×3, first 2 shown]
	v_pack_b32_f16 v4, v11, v4
	ds_write_b32 v7, v4 offset:1560
	v_mov_b32_e32 v5, v1
	v_mov_b32_e32 v4, v0
.LBB0_14:
	s_andn2_saveexec_b64 s[0:1], s[4:5]
	s_cbranch_execz .LBB0_16
; %bb.15:
	ds_read_b32 v1, v18 offset:780
	s_mov_b32 s4, 0xc0004000
	v_mov_b32_e32 v4, 0
	v_mov_b32_e32 v5, 0
	s_waitcnt lgkmcnt(0)
	v_pk_mul_f16 v1, v1, s4
	ds_write_b32 v18, v1 offset:780
.LBB0_16:
	s_or_b64 exec, exec, s[0:1]
	s_add_u32 s0, s8, 0x5e4
	v_lshlrev_b64 v[4:5], 2, v[4:5]
	s_addc_u32 s1, s9, 0
	v_mov_b32_e32 v1, s1
	v_add_co_u32_e64 v4, s[0:1], s0, v4
	v_addc_co_u32_e64 v5, s[0:1], v1, v5, s[0:1]
	global_load_dword v1, v[4:5], off offset:156
	global_load_dword v10, v[4:5], off offset:312
	;; [unrolled: 1-line block ×4, first 2 shown]
	s_mov_b32 s6, 0x5040100
	v_perm_b32 v4, v9, v8, s6
	ds_write_b32 v19, v4
	ds_read_b32 v4, v19 offset:156
	ds_read_b32 v5, v7 offset:1404
	v_lshl_add_u32 v26, v0, 2, 0
	s_mov_b32 s14, 0xba95
	s_movk_i32 s7, 0x388b
	s_mov_b32 s11, 0xbb7b
	s_waitcnt lgkmcnt(0)
	v_add_f16_e32 v8, v4, v5
	v_add_f16_sdwa v9, v5, v4 dst_sel:DWORD dst_unused:UNUSED_PAD src0_sel:WORD_1 src1_sel:WORD_1
	v_sub_f16_e32 v13, v4, v5
	v_sub_f16_sdwa v4, v4, v5 dst_sel:DWORD dst_unused:UNUSED_PAD src0_sel:WORD_1 src1_sel:WORD_1
	s_movk_i32 s10, 0x2fb7
	s_mov_b32 s12, 0xb5ac
	s_mov_b32 s13, 0xbbc4
	s_movk_i32 s0, 0x394e
	s_mov_b32 s15, 0xb9fd
	s_mov_b32 s16, 0xb3a8
	s_movk_i32 s17, 0x3770
	s_movk_i32 s18, 0x3b15
	s_mov_b32 s22, 0xbbf1
	s_movk_i32 s19, 0x3bf1
	s_movk_i32 s23, 0x33a8
	s_mov_b32 s1, 0xbbf1ba95
	s_mov_b32 s4, 0xb5acbbc4
	;; [unrolled: 1-line block ×11, first 2 shown]
	s_waitcnt vmcnt(3)
	v_lshrrev_b32_e32 v5, 16, v1
	v_fma_f16 v14, v13, v5, v8
	v_fma_f16 v15, v9, v5, v4
	v_fma_f16 v8, -v13, v5, v8
	v_fma_f16 v4, v9, v5, -v4
	v_fma_f16 v5, -v1, v9, v14
	v_fma_f16 v14, v13, v1, v15
	v_fma_f16 v8, v1, v9, v8
	v_fma_f16 v1, v13, v1, v4
	v_pack_b32_f16 v4, v5, v14
	v_pack_b32_f16 v1, v8, v1
	ds_write_b32 v19, v4 offset:156
	ds_write_b32 v7, v1 offset:1404
	ds_read_b32 v1, v19 offset:312
	ds_read_b32 v4, v7 offset:1248
	s_waitcnt vmcnt(2)
	v_lshrrev_b32_e32 v5, 16, v10
	s_waitcnt lgkmcnt(0)
	v_add_f16_e32 v8, v1, v4
	v_add_f16_sdwa v9, v4, v1 dst_sel:DWORD dst_unused:UNUSED_PAD src0_sel:WORD_1 src1_sel:WORD_1
	v_sub_f16_e32 v13, v1, v4
	v_sub_f16_sdwa v1, v1, v4 dst_sel:DWORD dst_unused:UNUSED_PAD src0_sel:WORD_1 src1_sel:WORD_1
	v_fma_f16 v4, v13, v5, v8
	v_fma_f16 v14, v9, v5, v1
	v_fma_f16 v8, -v13, v5, v8
	v_fma_f16 v1, v9, v5, -v1
	v_fma_f16 v4, -v10, v9, v4
	v_fma_f16 v5, v13, v10, v14
	v_fma_f16 v8, v10, v9, v8
	;; [unrolled: 1-line block ×3, first 2 shown]
	v_pack_b32_f16 v4, v4, v5
	v_pack_b32_f16 v1, v8, v1
	ds_write_b32 v19, v4 offset:312
	ds_write_b32 v7, v1 offset:1248
	ds_read_b32 v1, v19 offset:468
	ds_read_b32 v4, v7 offset:1092
	s_waitcnt vmcnt(1)
	v_lshrrev_b32_e32 v5, 16, v11
	s_waitcnt lgkmcnt(0)
	v_add_f16_e32 v8, v1, v4
	v_add_f16_sdwa v9, v4, v1 dst_sel:DWORD dst_unused:UNUSED_PAD src0_sel:WORD_1 src1_sel:WORD_1
	v_sub_f16_e32 v10, v1, v4
	v_sub_f16_sdwa v1, v1, v4 dst_sel:DWORD dst_unused:UNUSED_PAD src0_sel:WORD_1 src1_sel:WORD_1
	v_fma_f16 v4, v10, v5, v8
	v_fma_f16 v13, v9, v5, v1
	v_fma_f16 v8, -v10, v5, v8
	v_fma_f16 v1, v9, v5, -v1
	v_fma_f16 v4, -v11, v9, v4
	v_fma_f16 v5, v10, v11, v13
	v_fma_f16 v8, v11, v9, v8
	v_fma_f16 v1, v10, v11, v1
	v_pack_b32_f16 v4, v4, v5
	v_pack_b32_f16 v1, v8, v1
	ds_write_b32 v19, v4 offset:468
	ds_write_b32 v7, v1 offset:1092
	ds_read_b32 v4, v19 offset:624
	ds_read_b32 v5, v7 offset:936
	v_lshl_add_u32 v1, v6, 2, v26
	s_waitcnt vmcnt(0)
	v_lshrrev_b32_e32 v6, 16, v12
	v_add_u32_e32 v25, 0x400, v1
	s_waitcnt lgkmcnt(0)
	v_add_f16_e32 v8, v4, v5
	v_add_f16_sdwa v9, v5, v4 dst_sel:DWORD dst_unused:UNUSED_PAD src0_sel:WORD_1 src1_sel:WORD_1
	v_sub_f16_e32 v10, v4, v5
	v_sub_f16_sdwa v4, v4, v5 dst_sel:DWORD dst_unused:UNUSED_PAD src0_sel:WORD_1 src1_sel:WORD_1
	v_fma_f16 v5, v10, v6, v8
	v_fma_f16 v11, v9, v6, v4
	v_fma_f16 v8, -v10, v6, v8
	v_fma_f16 v4, v9, v6, -v4
	v_fma_f16 v5, -v12, v9, v5
	v_fma_f16 v6, v10, v12, v11
	v_fma_f16 v8, v12, v9, v8
	;; [unrolled: 1-line block ×3, first 2 shown]
	v_pack_b32_f16 v5, v5, v6
	v_pack_b32_f16 v4, v8, v4
	ds_write_b32 v19, v5 offset:624
	ds_write_b32 v7, v4 offset:936
	s_waitcnt lgkmcnt(0)
	s_barrier
	s_barrier
	ds_read2_b32 v[6:7], v25 offset0:74 offset1:104
	ds_read2_b32 v[8:9], v1 offset0:30 offset1:60
	ds_read_b32 v33, v19
	s_waitcnt lgkmcnt(1)
	v_pk_add_f16 v27, v8, v7 neg_lo:[0,1] neg_hi:[0,1]
	v_pk_add_f16 v30, v7, v8
	v_pk_add_f16 v28, v9, v6 neg_lo:[0,1] neg_hi:[0,1]
	v_mul_f16_sdwa v44, v27, s14 dst_sel:DWORD dst_unused:UNUSED_PAD src0_sel:WORD_1 src1_sel:DWORD
	v_pk_add_f16 v29, v6, v9
	v_lshrrev_b32_e32 v36, 16, v30
	v_mul_f16_e32 v48, 0xbbf1, v27
	v_mul_f16_sdwa v45, v28, s11 dst_sel:DWORD dst_unused:UNUSED_PAD src0_sel:WORD_1 src1_sel:DWORD
	v_fma_f16 v4, v30, s7, v44
	v_mul_f16_sdwa v51, v27, s11 dst_sel:DWORD dst_unused:UNUSED_PAD src0_sel:WORD_1 src1_sel:DWORD
	v_lshrrev_b32_e32 v37, 16, v29
	v_fma_f16 v5, v36, s10, -v48
	v_fma_f16 v11, v29, s12, v45
	s_waitcnt lgkmcnt(0)
	v_add_f16_e32 v4, v33, v4
	v_mul_f16_e32 v49, 0xb3a8, v28
	v_fma_f16 v10, v30, s12, v51
	v_add_f16_sdwa v5, v33, v5 dst_sel:DWORD dst_unused:UNUSED_PAD src0_sel:WORD_1 src1_sel:DWORD
	v_add_f16_e32 v4, v11, v4
	v_fma_f16 v11, v37, s13, -v49
	v_mul_f16_sdwa v52, v28, s0 dst_sel:DWORD dst_unused:UNUSED_PAD src0_sel:WORD_1 src1_sel:DWORD
	v_mul_f16_e32 v54, 0xbb7b, v27
	v_add_f16_e32 v10, v33, v10
	v_add_f16_e32 v5, v11, v5
	v_fma_f16 v11, v29, s15, v52
	v_add_f16_e32 v14, v11, v10
	v_fma_f16 v10, v36, s12, -v54
	v_add_f16_sdwa v15, v33, v10 dst_sel:DWORD dst_unused:UNUSED_PAD src0_sel:WORD_1 src1_sel:DWORD
	ds_read2_b32 v[12:13], v1 offset0:90 offset1:120
	ds_read2_b32 v[10:11], v25 offset0:14 offset1:44
	v_mul_f16_e32 v60, 0x394e, v28
	v_fma_f16 v16, v37, s15, -v60
	v_add_f16_e32 v15, v16, v15
	v_pk_mul_f16 v73, v29, s4
	s_waitcnt lgkmcnt(0)
	v_pk_add_f16 v31, v12, v11 neg_lo:[0,1] neg_hi:[0,1]
	v_pk_add_f16 v32, v11, v12
	v_mul_f16_sdwa v47, v31, s16 dst_sel:DWORD dst_unused:UNUSED_PAD src0_sel:WORD_1 src1_sel:DWORD
	v_fma_f16 v16, v32, s13, v47
	v_lshrrev_b32_e32 v41, 16, v32
	v_mul_f16_e32 v53, 0x3b7b, v31
	v_add_f16_e32 v4, v16, v4
	v_fma_f16 v16, v41, s12, -v53
	v_mul_f16_sdwa v58, v31, s17 dst_sel:DWORD dst_unused:UNUSED_PAD src0_sel:WORD_1 src1_sel:DWORD
	v_add_f16_e32 v5, v16, v5
	v_fma_f16 v16, v32, s18, v58
	v_mul_f16_e32 v63, 0x3770, v31
	v_pk_add_f16 v34, v13, v10 neg_lo:[0,1] neg_hi:[0,1]
	v_add_f16_e32 v14, v16, v14
	v_fma_f16 v16, v41, s18, -v63
	v_pk_add_f16 v35, v10, v13
	v_mul_f16_sdwa v50, v34, s0 dst_sel:DWORD dst_unused:UNUSED_PAD src0_sel:WORD_1 src1_sel:DWORD
	v_add_f16_e32 v21, v16, v15
	v_fma_f16 v15, v35, s15, v50
	v_lshrrev_b32_e32 v43, 16, v35
	v_mul_f16_e32 v57, 0x3770, v34
	v_add_f16_e32 v4, v15, v4
	v_fma_f16 v15, v43, s18, -v57
	v_mul_f16_sdwa v61, v34, s22 dst_sel:DWORD dst_unused:UNUSED_PAD src0_sel:WORD_1 src1_sel:DWORD
	v_add_f16_e32 v5, v15, v5
	v_fma_f16 v15, v35, s10, v61
	v_add_f16_e32 v22, v15, v14
	ds_read2_b32 v[16:17], v1 offset0:150 offset1:180
	ds_read2_b32 v[14:15], v1 offset0:210 offset1:240
	v_mul_f16_e32 v67, 0xbbf1, v34
	v_fma_f16 v23, v43, s10, -v67
	v_add_f16_e32 v21, v23, v21
	s_mov_b32 s0, 0x388b2fb7
	s_waitcnt lgkmcnt(0)
	v_pk_add_f16 v38, v16, v15 neg_lo:[0,1] neg_hi:[0,1]
	v_pk_add_f16 v39, v15, v16
	v_mul_f16_sdwa v56, v38, s19 dst_sel:DWORD dst_unused:UNUSED_PAD src0_sel:WORD_1 src1_sel:DWORD
	v_fma_f16 v23, v39, s10, v56
	v_lshrrev_b32_e32 v46, 16, v39
	v_mul_f16_e32 v62, 0xba95, v38
	v_add_f16_e32 v4, v23, v4
	v_fma_f16 v23, v46, s7, -v62
	v_mul_f16_sdwa v66, v38, s23 dst_sel:DWORD dst_unused:UNUSED_PAD src0_sel:WORD_1 src1_sel:DWORD
	v_add_f16_e32 v23, v23, v5
	v_fma_f16 v5, v39, s13, v66
	v_mul_f16_e32 v72, 0x33a8, v38
	v_pk_add_f16 v40, v17, v14 neg_lo:[0,1] neg_hi:[0,1]
	v_add_f16_e32 v5, v5, v22
	v_fma_f16 v22, v46, s13, -v72
	v_pk_add_f16 v42, v14, v17
	v_mul_f16_sdwa v59, v40, s17 dst_sel:DWORD dst_unused:UNUSED_PAD src0_sel:WORD_1 src1_sel:DWORD
	v_pk_mul_f16 v24, v30, s0
	v_add_f16_e32 v22, v22, v21
	v_fma_f16 v21, v42, s18, v59
	v_pk_fma_f16 v64, v27, s1, v24 op_sel:[0,0,1] op_sel_hi:[1,1,0]
	v_add_f16_e32 v21, v21, v4
	v_pk_fma_f16 v65, v28, s5, v73 op_sel:[0,0,1] op_sel_hi:[1,1,0]
	v_add_f16_sdwa v4, v33, v64 dst_sel:DWORD dst_unused:UNUSED_PAD src0_sel:DWORD src1_sel:WORD_1
	v_pk_mul_f16 v74, v32, s20
	v_add_f16_sdwa v4, v65, v4 dst_sel:DWORD dst_unused:UNUSED_PAD src0_sel:WORD_1 src1_sel:DWORD
	v_pk_fma_f16 v68, v31, s21, v74 op_sel:[0,0,1] op_sel_hi:[1,1,0]
	v_pk_mul_f16 v76, v35, s24
	v_add_f16_sdwa v4, v68, v4 dst_sel:DWORD dst_unused:UNUSED_PAD src0_sel:WORD_1 src1_sel:DWORD
	v_pk_fma_f16 v69, v34, s25, v76 op_sel:[0,0,1] op_sel_hi:[1,1,0]
	v_pk_mul_f16 v82, v39, s26
	s_movk_i32 s20, 0x3a95
	v_add_f16_sdwa v4, v69, v4 dst_sel:DWORD dst_unused:UNUSED_PAD src0_sel:WORD_1 src1_sel:DWORD
	v_pk_fma_f16 v70, v38, s27, v82 op_sel:[0,0,1] op_sel_hi:[1,1,0]
	v_mul_f16_sdwa v80, v40, s20 dst_sel:DWORD dst_unused:UNUSED_PAD src0_sel:WORD_1 src1_sel:DWORD
	v_pk_mul_f16 v83, v42, s28
	v_add_f16_sdwa v55, v70, v4 dst_sel:DWORD dst_unused:UNUSED_PAD src0_sel:WORD_1 src1_sel:DWORD
	v_fma_f16 v4, v42, s7, v80
	v_pk_fma_f16 v71, v40, s29, v83 op_sel:[0,0,1] op_sel_hi:[1,1,0]
	v_add_f16_e32 v4, v4, v5
	v_add_f16_sdwa v5, v71, v55 dst_sel:DWORD dst_unused:UNUSED_PAD src0_sel:WORD_1 src1_sel:DWORD
	v_lshrrev_b32_e32 v55, 16, v42
	v_mul_f16_e32 v78, 0xb94e, v40
	v_fma_f16 v75, v55, s15, -v78
	v_mul_f16_e32 v81, 0x3a95, v40
	v_pk_fma_f16 v79, v27, s1, v24 op_sel:[0,0,1] op_sel_hi:[1,1,0] neg_lo:[1,0,0] neg_hi:[1,0,0]
	v_add_f16_e32 v23, v75, v23
	v_fma_f16 v75, v55, s7, -v81
	v_pk_fma_f16 v77, v28, s5, v73 op_sel:[0,0,1] op_sel_hi:[1,1,0] neg_lo:[1,0,0] neg_hi:[1,0,0]
	v_add_f16_sdwa v24, v33, v79 dst_sel:DWORD dst_unused:UNUSED_PAD src0_sel:WORD_1 src1_sel:DWORD
	v_add_f16_e32 v22, v75, v22
	v_pk_fma_f16 v75, v31, s21, v74 op_sel:[0,0,1] op_sel_hi:[1,1,0] neg_lo:[1,0,0] neg_hi:[1,0,0]
	v_add_f16_e32 v24, v77, v24
	v_pk_fma_f16 v76, v34, s25, v76 op_sel:[0,0,1] op_sel_hi:[1,1,0] neg_lo:[1,0,0] neg_hi:[1,0,0]
	;; [unrolled: 2-line block ×4, first 2 shown]
	v_add_f16_e32 v24, v74, v24
	v_add_f16_e32 v24, v73, v24
	s_mov_b32 s21, 0xb94e
	v_cmp_gt_u32_e64 s[0:1], 30, v0
	s_barrier
	s_and_saveexec_b64 s[4:5], s[0:1]
	s_cbranch_execz .LBB0_18
; %bb.17:
	v_mul_f16_e32 v82, 0xb94e, v27
	v_fma_f16 v83, v36, s15, v82
	v_mul_f16_e32 v84, 0x3bf1, v28
	v_add_f16_sdwa v83, v33, v83 dst_sel:DWORD dst_unused:UNUSED_PAD src0_sel:WORD_1 src1_sel:DWORD
	v_fma_f16 v85, v37, s10, v84
	v_add_f16_e32 v83, v85, v83
	v_mul_f16_e32 v85, 0xba95, v31
	v_fma_f16 v86, v41, s7, v85
	v_add_f16_e32 v83, v86, v83
	v_mul_f16_e32 v86, 0x33a8, v34
	;; [unrolled: 3-line block ×4, first 2 shown]
	v_fma_f16 v89, v55, s12, v88
	v_add_f16_e32 v83, v89, v83
	v_mul_f16_sdwa v89, v27, s21 dst_sel:DWORD dst_unused:UNUSED_PAD src0_sel:WORD_1 src1_sel:DWORD
	v_fma_f16 v90, v30, s15, -v89
	v_mul_f16_sdwa v91, v28, s19 dst_sel:DWORD dst_unused:UNUSED_PAD src0_sel:WORD_1 src1_sel:DWORD
	v_add_f16_e32 v90, v33, v90
	v_fma_f16 v92, v29, s10, -v91
	v_add_f16_e32 v90, v92, v90
	v_mul_f16_sdwa v92, v31, s14 dst_sel:DWORD dst_unused:UNUSED_PAD src0_sel:WORD_1 src1_sel:DWORD
	v_fma_f16 v93, v32, s7, -v92
	v_add_f16_e32 v90, v93, v90
	v_mul_f16_sdwa v93, v34, s23 dst_sel:DWORD dst_unused:UNUSED_PAD src0_sel:WORD_1 src1_sel:DWORD
	;; [unrolled: 3-line block ×4, first 2 shown]
	v_fma_f16 v96, v42, s12, -v95
	v_add_f16_e32 v90, v96, v90
	v_mul_f16_e32 v96, 0xb5ac, v36
	v_add_f16_e32 v54, v54, v96
	v_mul_f16_e32 v96, 0xb9fd, v37
	v_add_f16_e32 v60, v60, v96
	v_add_f16_sdwa v54, v33, v54 dst_sel:DWORD dst_unused:UNUSED_PAD src0_sel:WORD_1 src1_sel:DWORD
	v_add_f16_e32 v54, v60, v54
	v_mul_f16_e32 v60, 0x3b15, v41
	v_add_f16_e32 v60, v63, v60
	v_add_f16_e32 v54, v60, v54
	v_mul_f16_e32 v60, 0x2fb7, v43
	v_add_f16_e32 v60, v67, v60
	;; [unrolled: 3-line block ×4, first 2 shown]
	v_add_f16_e32 v54, v60, v54
	v_mul_f16_e32 v60, 0xb5ac, v30
	v_sub_f16_e32 v51, v60, v51
	v_mul_f16_e32 v60, 0xb9fd, v29
	v_sub_f16_e32 v52, v60, v52
	v_add_f16_e32 v51, v33, v51
	v_add_f16_e32 v51, v52, v51
	v_mul_f16_e32 v52, 0x3b15, v32
	v_sub_f16_e32 v52, v52, v58
	v_add_f16_e32 v51, v52, v51
	v_mul_f16_e32 v52, 0x2fb7, v35
	v_mul_f16_e32 v58, 0x388b, v30
	v_sub_f16_e32 v52, v52, v61
	v_mul_f16_e32 v61, 0xb5ac, v29
	v_sub_f16_e32 v44, v58, v44
	v_add_f16_e32 v51, v52, v51
	v_mul_f16_e32 v52, 0xbbc4, v39
	v_mul_f16_e32 v63, 0xbbc4, v32
	v_sub_f16_e32 v45, v61, v45
	v_add_f16_e32 v44, v33, v44
	v_sub_f16_e32 v52, v52, v66
	v_mul_f16_e32 v58, 0xb9fd, v35
	v_add_f16_e32 v44, v45, v44
	v_sub_f16_e32 v47, v63, v47
	v_add_f16_e32 v51, v52, v51
	v_mul_f16_e32 v52, 0x388b, v42
	v_mul_f16_e32 v61, 0x2fb7, v39
	v_add_f16_e32 v44, v47, v44
	v_sub_f16_e32 v47, v58, v50
	v_sub_f16_e32 v52, v52, v80
	v_mul_f16_e32 v45, 0x3b15, v42
	v_add_f16_e32 v44, v47, v44
	v_sub_f16_e32 v47, v61, v56
	v_add_f16_e32 v51, v52, v51
	v_mul_f16_e32 v52, 0x2fb7, v36
	v_add_f16_e32 v44, v47, v44
	v_sub_f16_e32 v45, v45, v59
	v_add_f16_e32 v48, v48, v52
	v_mul_f16_e32 v52, 0xbbc4, v37
	v_add_f16_e32 v44, v45, v44
	v_mul_f16_e32 v45, 0xb770, v27
	v_add_f16_e32 v49, v49, v52
	v_add_f16_sdwa v48, v33, v48 dst_sel:DWORD dst_unused:UNUSED_PAD src0_sel:WORD_1 src1_sel:DWORD
	v_fma_f16 v47, v36, s18, v45
	v_mul_f16_e32 v50, 0xba95, v28
	v_add_f16_e32 v48, v49, v48
	v_mul_f16_e32 v49, 0xb5ac, v41
	v_add_f16_sdwa v47, v33, v47 dst_sel:DWORD dst_unused:UNUSED_PAD src0_sel:WORD_1 src1_sel:DWORD
	v_fma_f16 v56, v37, s7, v50
	v_add_f16_e32 v49, v53, v49
	v_add_f16_e32 v47, v56, v47
	v_mul_f16_e32 v56, 0xbbf1, v31
	v_add_f16_e32 v48, v49, v48
	v_mul_f16_e32 v49, 0x3b15, v43
	v_fma_f16 v58, v41, s10, v56
	v_add_f16_e32 v49, v57, v49
	v_add_f16_e32 v47, v58, v47
	v_mul_f16_e32 v58, 0xbb7b, v34
	v_add_f16_e32 v48, v49, v48
	v_mul_f16_e32 v49, 0x388b, v46
	;; [unrolled: 6-line block ×3, first 2 shown]
	v_fma_f16 v61, v46, s15, v59
	v_add_f16_e32 v49, v78, v49
	s_mov_b32 s0, 0xffff
	v_add_f16_e32 v47, v61, v47
	v_mul_f16_e32 v61, 0xb3a8, v40
	v_add_f16_e32 v48, v49, v48
	v_bfi_b32 v49, s0, v64, v79
	v_bfi_b32 v52, s0, v65, v77
	;; [unrolled: 1-line block ×6, first 2 shown]
	s_mov_b32 s0, 0xb770
	v_fma_f16 v63, v55, s13, v61
	v_add_f16_e32 v47, v63, v47
	v_mul_f16_sdwa v63, v27, s0 dst_sel:DWORD dst_unused:UNUSED_PAD src0_sel:WORD_1 src1_sel:DWORD
	v_fma_f16 v64, v30, s18, -v63
	v_mul_f16_sdwa v65, v28, s14 dst_sel:DWORD dst_unused:UNUSED_PAD src0_sel:WORD_1 src1_sel:DWORD
	v_add_f16_e32 v64, v33, v64
	v_fma_f16 v66, v29, s7, -v65
	v_add_f16_e32 v64, v66, v64
	v_mul_f16_sdwa v66, v31, s22 dst_sel:DWORD dst_unused:UNUSED_PAD src0_sel:WORD_1 src1_sel:DWORD
	v_fma_f16 v67, v32, s10, -v66
	v_add_f16_e32 v64, v67, v64
	v_mul_f16_sdwa v67, v34, s11 dst_sel:DWORD dst_unused:UNUSED_PAD src0_sel:WORD_1 src1_sel:DWORD
	;; [unrolled: 3-line block ×4, first 2 shown]
	v_fma_f16 v70, v42, s13, -v69
	v_add_f16_e32 v64, v70, v64
	v_fma_f16 v70, v36, s15, -v82
	v_add_f16_sdwa v70, v33, v70 dst_sel:DWORD dst_unused:UNUSED_PAD src0_sel:WORD_1 src1_sel:DWORD
	v_fma_f16 v71, v37, s10, -v84
	v_add_f16_e32 v70, v71, v70
	v_fma_f16 v71, v41, s7, -v85
	v_fma_f16 v36, v36, s18, -v45
	v_add_f16_e32 v70, v71, v70
	v_fma_f16 v71, v43, s13, -v86
	v_add_f16_sdwa v36, v33, v36 dst_sel:DWORD dst_unused:UNUSED_PAD src0_sel:WORD_1 src1_sel:DWORD
	v_fma_f16 v37, v37, s7, -v50
	v_add_f16_e32 v70, v71, v70
	v_fma_f16 v71, v46, s18, -v87
	v_pk_add_f16 v8, v33, v8
	v_add_f16_e32 v36, v37, v36
	v_fma_f16 v37, v41, s10, -v56
	v_add_f16_e32 v70, v71, v70
	v_fma_f16 v71, v55, s12, -v88
	;; [unrolled: 2-line block ×3, first 2 shown]
	v_pk_add_f16 v8, v8, v9
	v_add_f16_e32 v70, v71, v70
	v_fma_f16 v71, v30, s15, v89
	v_add_f16_e32 v36, v37, v36
	v_fma_f16 v37, v46, s15, -v59
	v_pk_add_f16 v8, v8, v12
	v_add_f16_e32 v71, v33, v71
	v_fma_f16 v72, v29, s10, v91
	v_add_f16_e32 v36, v37, v36
	v_fma_f16 v37, v55, s13, -v61
	v_pk_add_f16 v8, v8, v13
	v_add_f16_e32 v71, v72, v71
	v_fma_f16 v72, v32, s7, v92
	v_add_f16_e32 v36, v37, v36
	v_fma_f16 v37, v30, s18, v63
	v_pk_add_f16 v8, v8, v16
	v_add_f16_e32 v71, v72, v71
	v_alignbit_b32 v72, v33, v33, 16
	v_add_f16_e32 v33, v33, v37
	v_fma_f16 v37, v29, s7, v65
	v_pk_add_f16 v8, v8, v17
	v_add_f16_e32 v33, v37, v33
	v_fma_f16 v37, v32, s10, v66
	v_pk_add_f16 v8, v8, v14
	;; [unrolled: 3-line block ×5, first 2 shown]
	v_add_f16_e32 v33, v37, v33
	v_mul_u32_u24_e32 v37, 48, v0
	v_pk_add_f16 v6, v8, v6
	v_add3_u32 v26, v26, v37, v20
	v_pk_add_f16 v6, v6, v7
	v_pack_b32_f16 v7, v64, v47
	ds_write2_b32 v26, v6, v7 offset1:1
	v_pk_add_f16 v6, v72, v49
	v_pk_add_f16 v6, v52, v6
	;; [unrolled: 1-line block ×6, first 2 shown]
	v_alignbit_b32 v7, v48, v6, 16
	v_pack_b32_f16 v6, v44, v6
	ds_write2_b32 v26, v6, v7 offset0:2 offset1:3
	v_pack_b32_f16 v6, v51, v54
	v_pack_b32_f16 v7, v90, v83
	ds_write2_b32 v26, v6, v7 offset0:4 offset1:5
	v_pk_mul_f16 v6, v30, s13 op_sel_hi:[1,0]
	v_pk_fma_f16 v7, v27, s16, v6 op_sel:[0,0,1] op_sel_hi:[1,0,0] neg_lo:[1,0,0] neg_hi:[1,0,0]
	v_pk_mul_f16 v8, v29, s18 op_sel_hi:[1,0]
	v_pk_add_f16 v7, v72, v7
	v_pk_fma_f16 v9, v28, s17, v8 op_sel:[0,0,1] op_sel_hi:[1,0,0] neg_lo:[1,0,0] neg_hi:[1,0,0]
	v_pk_add_f16 v7, v9, v7
	v_pk_mul_f16 v9, v32, s15 op_sel_hi:[1,0]
	v_pk_fma_f16 v10, v31, s21, v9 op_sel:[0,0,1] op_sel_hi:[1,0,0] neg_lo:[1,0,0] neg_hi:[1,0,0]
	v_pk_add_f16 v7, v10, v7
	v_pk_mul_f16 v10, v35, s7 op_sel_hi:[1,0]
	v_pk_fma_f16 v6, v27, s16, v6 op_sel:[0,0,1] op_sel_hi:[1,0,0]
	v_pk_fma_f16 v11, v34, s20, v10 op_sel:[0,0,1] op_sel_hi:[1,0,0] neg_lo:[1,0,0] neg_hi:[1,0,0]
	v_pk_add_f16 v6, v72, v6
	v_pk_fma_f16 v8, v28, s17, v8 op_sel:[0,0,1] op_sel_hi:[1,0,0]
	v_pk_add_f16 v7, v11, v7
	v_pk_mul_f16 v11, v39, s12 op_sel_hi:[1,0]
	v_pk_add_f16 v6, v8, v6
	v_pk_fma_f16 v8, v31, s21, v9 op_sel:[0,0,1] op_sel_hi:[1,0,0]
	v_pk_fma_f16 v12, v38, s11, v11 op_sel:[0,0,1] op_sel_hi:[1,0,0] neg_lo:[1,0,0] neg_hi:[1,0,0]
	v_pk_add_f16 v6, v8, v6
	v_pk_fma_f16 v8, v34, s20, v10 op_sel:[0,0,1] op_sel_hi:[1,0,0]
	v_fma_f16 v73, v35, s13, v93
	v_pk_add_f16 v7, v12, v7
	v_pk_mul_f16 v12, v42, s10 op_sel_hi:[1,0]
	v_pk_add_f16 v6, v8, v6
	v_pk_fma_f16 v8, v38, s11, v11 op_sel:[0,0,1] op_sel_hi:[1,0,0]
	v_add_f16_e32 v71, v73, v71
	v_fma_f16 v73, v39, s18, v94
	v_pk_fma_f16 v13, v40, s19, v12 op_sel:[0,0,1] op_sel_hi:[1,0,0] neg_lo:[1,0,0] neg_hi:[1,0,0]
	v_pk_add_f16 v6, v8, v6
	v_pk_fma_f16 v8, v40, s19, v12 op_sel:[0,0,1] op_sel_hi:[1,0,0]
	v_add_f16_e32 v71, v73, v71
	v_fma_f16 v73, v42, s12, v95
	v_pk_add_f16 v7, v13, v7
	v_pk_add_f16 v6, v8, v6
	v_add_f16_e32 v71, v73, v71
	v_alignbit_b32 v8, v7, v6, 16
	v_alignbit_b32 v6, v6, v7, 16
	ds_write2_b32 v26, v6, v8 offset0:6 offset1:7
	v_pack_b32_f16 v6, v71, v70
	v_perm_b32 v7, v22, v4, s6
	ds_write2_b32 v26, v6, v7 offset0:8 offset1:9
	v_perm_b32 v6, v24, v21, s6
	v_perm_b32 v7, v23, v5, s6
	ds_write2_b32 v26, v7, v6 offset0:10 offset1:11
	v_pack_b32_f16 v6, v33, v36
	ds_write_b32 v26, v6 offset:48
.LBB0_18:
	s_or_b64 exec, exec, s[4:5]
	v_add_u32_e32 v6, 0x200, v1
	s_waitcnt lgkmcnt(0)
	s_barrier
	ds_read_b32 v15, v19
	ds_read2_b32 v[8:9], v1 offset0:130 offset1:169
	ds_read2_b32 v[10:11], v6 offset0:80 offset1:132
	;; [unrolled: 1-line block ×4, first 2 shown]
	v_cmp_gt_u32_e64 s[0:1], 13, v0
	s_and_saveexec_b64 s[4:5], s[0:1]
	s_cbranch_execz .LBB0_20
; %bb.19:
	ds_read2_b32 v[4:5], v1 offset0:117 offset1:247
	ds_read_b32 v21, v1 offset:1508
	s_waitcnt lgkmcnt(1)
	v_lshrrev_b32_e32 v22, 16, v4
	s_waitcnt lgkmcnt(0)
	v_lshrrev_b32_e32 v24, 16, v21
	v_lshrrev_b32_e32 v23, 16, v5
.LBB0_20:
	s_or_b64 exec, exec, s[4:5]
	s_movk_i32 s6, 0x4f
	v_add_u16_e32 v17, 39, v0
	v_mul_lo_u16_sdwa v14, v0, s6 dst_sel:DWORD dst_unused:UNUSED_PAD src0_sel:BYTE_0 src1_sel:DWORD
	v_mul_lo_u16_sdwa v25, v17, s6 dst_sel:DWORD dst_unused:UNUSED_PAD src0_sel:BYTE_0 src1_sel:DWORD
	v_add_u16_e32 v27, 0x4e, v0
	v_lshrrev_b16_e32 v29, 10, v14
	v_lshrrev_b16_e32 v31, 10, v25
	v_mul_lo_u16_sdwa v26, v27, s6 dst_sel:DWORD dst_unused:UNUSED_PAD src0_sel:BYTE_0 src1_sel:DWORD
	v_mul_lo_u16_e32 v14, 13, v29
	v_mul_lo_u16_e32 v25, 13, v31
	v_lshrrev_b16_e32 v33, 10, v26
	v_sub_u16_e32 v30, v0, v14
	v_mov_b32_e32 v14, 3
	v_sub_u16_e32 v32, v17, v25
	v_mul_lo_u16_e32 v28, 13, v33
	v_lshlrev_b32_sdwa v16, v14, v30 dst_sel:DWORD dst_unused:UNUSED_PAD src0_sel:DWORD src1_sel:BYTE_0
	v_lshlrev_b32_sdwa v25, v14, v32 dst_sel:DWORD dst_unused:UNUSED_PAD src0_sel:DWORD src1_sel:BYTE_0
	v_sub_u16_e32 v34, v27, v28
	global_load_dwordx2 v[16:17], v16, s[8:9]
	v_lshlrev_b32_sdwa v27, v14, v34 dst_sel:DWORD dst_unused:UNUSED_PAD src0_sel:DWORD src1_sel:BYTE_0
	global_load_dwordx2 v[25:26], v25, s[8:9]
	s_waitcnt lgkmcnt(3)
	v_lshrrev_b32_e32 v38, 16, v8
	global_load_dwordx2 v[27:28], v27, s[8:9]
	s_waitcnt lgkmcnt(2)
	v_lshrrev_b32_e32 v39, 16, v11
	v_lshrrev_b32_e32 v40, 16, v9
	s_waitcnt lgkmcnt(0)
	v_lshrrev_b32_e32 v41, 16, v12
	v_lshrrev_b32_e32 v43, 16, v13
	;; [unrolled: 1-line block ×6, first 2 shown]
	s_movk_i32 s7, 0x3aee
	s_mov_b32 s10, 0xbaee
	s_movk_i32 s4, 0x9c
	s_waitcnt vmcnt(0)
	s_barrier
	v_mul_f16_sdwa v44, v16, v38 dst_sel:DWORD dst_unused:UNUSED_PAD src0_sel:WORD_1 src1_sel:DWORD
	v_mul_f16_sdwa v45, v16, v8 dst_sel:DWORD dst_unused:UNUSED_PAD src0_sel:WORD_1 src1_sel:DWORD
	v_mul_f16_sdwa v46, v17, v39 dst_sel:DWORD dst_unused:UNUSED_PAD src0_sel:WORD_1 src1_sel:DWORD
	v_mul_f16_sdwa v47, v17, v11 dst_sel:DWORD dst_unused:UNUSED_PAD src0_sel:WORD_1 src1_sel:DWORD
	v_mul_f16_sdwa v48, v25, v40 dst_sel:DWORD dst_unused:UNUSED_PAD src0_sel:WORD_1 src1_sel:DWORD
	v_mul_f16_sdwa v50, v26, v41 dst_sel:DWORD dst_unused:UNUSED_PAD src0_sel:WORD_1 src1_sel:DWORD
	v_mul_f16_sdwa v49, v25, v9 dst_sel:DWORD dst_unused:UNUSED_PAD src0_sel:WORD_1 src1_sel:DWORD
	v_mul_f16_sdwa v51, v26, v12 dst_sel:DWORD dst_unused:UNUSED_PAD src0_sel:WORD_1 src1_sel:DWORD
	v_mul_f16_sdwa v54, v28, v43 dst_sel:DWORD dst_unused:UNUSED_PAD src0_sel:WORD_1 src1_sel:DWORD
	v_mul_f16_sdwa v55, v28, v13 dst_sel:DWORD dst_unused:UNUSED_PAD src0_sel:WORD_1 src1_sel:DWORD
	v_fma_f16 v8, v16, v8, -v44
	v_fma_f16 v16, v16, v38, v45
	v_fma_f16 v11, v17, v11, -v46
	v_fma_f16 v17, v17, v39, v47
	v_fma_f16 v9, v25, v9, -v48
	v_fma_f16 v12, v26, v12, -v50
	v_mul_f16_sdwa v52, v27, v42 dst_sel:DWORD dst_unused:UNUSED_PAD src0_sel:WORD_1 src1_sel:DWORD
	v_mul_f16_sdwa v53, v27, v10 dst_sel:DWORD dst_unused:UNUSED_PAD src0_sel:WORD_1 src1_sel:DWORD
	v_fma_f16 v25, v25, v40, v49
	v_fma_f16 v26, v26, v41, v51
	v_fma_f16 v13, v28, v13, -v54
	v_fma_f16 v28, v28, v43, v55
	v_sub_f16_e32 v40, v16, v17
	v_add_f16_e32 v41, v35, v16
	v_add_f16_e32 v16, v16, v17
	;; [unrolled: 1-line block ×3, first 2 shown]
	v_fma_f16 v10, v27, v10, -v52
	v_fma_f16 v27, v27, v42, v53
	v_add_f16_e32 v38, v15, v8
	v_add_f16_e32 v39, v8, v11
	v_sub_f16_e32 v8, v8, v11
	v_add_f16_e32 v42, v6, v9
	v_sub_f16_e32 v44, v25, v26
	v_fma_f16 v16, v16, -0.5, v35
	v_fma_f16 v6, v43, -0.5, v6
	v_add_f16_e32 v11, v38, v11
	v_fma_f16 v15, v39, -0.5, v15
	v_fma_f16 v38, v8, s10, v16
	v_fma_f16 v8, v8, s7, v16
	;; [unrolled: 1-line block ×4, first 2 shown]
	v_add_f16_e32 v6, v37, v27
	v_add_f16_e32 v17, v41, v17
	v_add_f16_e32 v41, v6, v28
	v_add_f16_e32 v6, v27, v28
	v_add_f16_e32 v46, v7, v10
	v_add_f16_e32 v47, v10, v13
	v_fma_f16 v6, v6, -0.5, v37
	v_sub_f16_e32 v10, v10, v13
	v_add_f16_e32 v45, v36, v25
	v_add_f16_e32 v25, v25, v26
	v_add_f16_e32 v35, v46, v13
	v_fma_f16 v13, v10, s10, v6
	v_fma_f16 v10, v10, s7, v6
	v_mov_b32_e32 v6, 2
	v_sub_f16_e32 v48, v27, v28
	v_fma_f16 v25, v25, -0.5, v36
	v_fma_f16 v36, v40, s7, v15
	v_fma_f16 v15, v40, s10, v15
	v_mad_u32_u24 v27, v29, s4, 0
	v_lshlrev_b32_sdwa v28, v6, v30 dst_sel:DWORD dst_unused:UNUSED_PAD src0_sel:DWORD src1_sel:BYTE_0
	v_sub_f16_e32 v9, v9, v12
	v_add3_u32 v27, v27, v28, v20
	v_pack_b32_f16 v11, v11, v17
	v_pack_b32_f16 v17, v36, v38
	;; [unrolled: 1-line block ×3, first 2 shown]
	v_add_f16_e32 v12, v42, v12
	v_add_f16_e32 v26, v45, v26
	v_fma_f16 v40, v9, s10, v25
	v_fma_f16 v9, v9, s7, v25
	ds_write2_b32 v27, v11, v17 offset1:13
	ds_write_b32 v27, v8 offset:104
	v_mad_u32_u24 v8, v31, s4, 0
	v_lshlrev_b32_sdwa v11, v6, v32 dst_sel:DWORD dst_unused:UNUSED_PAD src0_sel:DWORD src1_sel:BYTE_0
	v_fma_f16 v7, v47, -0.5, v7
	v_add3_u32 v8, v8, v11, v20
	v_pack_b32_f16 v11, v12, v26
	v_pack_b32_f16 v12, v16, v40
	;; [unrolled: 1-line block ×3, first 2 shown]
	v_fma_f16 v25, v48, s7, v7
	v_fma_f16 v7, v48, s10, v7
	ds_write2_b32 v8, v11, v12 offset1:13
	ds_write_b32 v8, v9 offset:104
	v_mad_u32_u24 v8, v33, s4, 0
	v_lshlrev_b32_sdwa v9, v6, v34 dst_sel:DWORD dst_unused:UNUSED_PAD src0_sel:DWORD src1_sel:BYTE_0
	v_add3_u32 v8, v8, v9, v20
	v_pack_b32_f16 v9, v35, v41
	v_pack_b32_f16 v11, v25, v13
	;; [unrolled: 1-line block ×3, first 2 shown]
	ds_write2_b32 v8, v9, v11 offset1:13
	ds_write_b32 v8, v7 offset:104
	s_and_saveexec_b64 s[4:5], s[0:1]
	s_cbranch_execz .LBB0_22
; %bb.21:
	v_add_u16_e32 v7, 0x75, v0
	v_mul_lo_u16_sdwa v8, v7, s6 dst_sel:DWORD dst_unused:UNUSED_PAD src0_sel:BYTE_0 src1_sel:DWORD
	v_lshrrev_b16_e32 v8, 10, v8
	v_mul_lo_u16_e32 v8, 13, v8
	v_sub_u16_e32 v9, v7, v8
	v_lshlrev_b32_sdwa v7, v14, v9 dst_sel:DWORD dst_unused:UNUSED_PAD src0_sel:DWORD src1_sel:BYTE_0
	global_load_dwordx2 v[7:8], v7, s[8:9]
	v_lshlrev_b32_sdwa v6, v6, v9 dst_sel:DWORD dst_unused:UNUSED_PAD src0_sel:DWORD src1_sel:BYTE_0
	v_add3_u32 v6, 0, v6, v20
	v_add_u32_e32 v9, 0x400, v6
	s_waitcnt vmcnt(0)
	v_mul_f16_sdwa v10, v23, v7 dst_sel:DWORD dst_unused:UNUSED_PAD src0_sel:DWORD src1_sel:WORD_1
	v_mul_f16_sdwa v11, v24, v8 dst_sel:DWORD dst_unused:UNUSED_PAD src0_sel:DWORD src1_sel:WORD_1
	;; [unrolled: 1-line block ×4, first 2 shown]
	v_fma_f16 v5, v5, v7, -v10
	v_fma_f16 v10, v21, v8, -v11
	v_fma_f16 v7, v23, v7, v12
	v_fma_f16 v8, v24, v8, v13
	v_add_f16_e32 v12, v7, v8
	v_add_f16_e32 v14, v5, v10
	v_sub_f16_e32 v11, v5, v10
	v_add_f16_e32 v13, v22, v7
	v_sub_f16_e32 v7, v7, v8
	v_add_f16_e32 v5, v4, v5
	v_fma_f16 v12, v12, -0.5, v22
	v_fma_f16 v4, v14, -0.5, v4
	v_add_f16_e32 v8, v13, v8
	v_add_f16_e32 v5, v5, v10
	v_fma_f16 v10, v11, s7, v12
	v_fma_f16 v11, v11, s10, v12
	;; [unrolled: 1-line block ×4, first 2 shown]
	v_pack_b32_f16 v5, v5, v8
	v_pack_b32_f16 v4, v4, v11
	;; [unrolled: 1-line block ×3, first 2 shown]
	ds_write2_b32 v9, v5, v4 offset0:95 offset1:108
	ds_write_b32 v6, v7 offset:1508
.LBB0_22:
	s_or_b64 exec, exec, s[4:5]
	v_mul_u32_u24_e32 v4, 9, v0
	v_lshlrev_b32_e32 v12, 2, v4
	s_waitcnt lgkmcnt(0)
	s_barrier
	global_load_dwordx4 v[4:7], v12, s[8:9] offset:104
	global_load_dwordx4 v[8:11], v12, s[8:9] offset:120
	global_load_dword v21, v12, s[8:9] offset:136
	ds_read2_b32 v[12:13], v1 offset0:39 offset1:78
	ds_read2_b32 v[14:15], v1 offset0:117 offset1:156
	;; [unrolled: 1-line block ×3, first 2 shown]
	v_add_u32_e32 v22, 0x400, v1
	ds_read_b32 v23, v19
	ds_read_b32 v24, v1 offset:1404
	ds_read2_b32 v[19:20], v22 offset0:17 offset1:56
	s_waitcnt lgkmcnt(4)
	v_lshrrev_b32_e32 v31, 16, v15
	s_waitcnt lgkmcnt(3)
	v_lshrrev_b32_e32 v26, 16, v17
	v_lshrrev_b32_e32 v29, 16, v13
	s_waitcnt lgkmcnt(1)
	v_lshrrev_b32_e32 v27, 16, v24
	s_waitcnt lgkmcnt(0)
	v_lshrrev_b32_e32 v34, 16, v20
	v_lshrrev_b32_e32 v28, 16, v12
	;; [unrolled: 1-line block ×4, first 2 shown]
	s_movk_i32 s0, 0x3b9c
	s_mov_b32 s5, 0xbb9c
	s_movk_i32 s1, 0x38b4
	s_mov_b32 s6, 0xb8b4
	v_lshrrev_b32_e32 v25, 16, v23
	v_lshrrev_b32_e32 v33, 16, v19
	s_movk_i32 s4, 0x34f2
	s_movk_i32 s7, 0x3a79
	s_waitcnt vmcnt(0)
	s_barrier
	v_mul_f16_sdwa v41, v7, v31 dst_sel:DWORD dst_unused:UNUSED_PAD src0_sel:WORD_1 src1_sel:DWORD
	v_mul_f16_sdwa v45, v26, v9 dst_sel:DWORD dst_unused:UNUSED_PAD src0_sel:DWORD src1_sel:WORD_1
	v_mul_f16_sdwa v37, v5, v29 dst_sel:DWORD dst_unused:UNUSED_PAD src0_sel:WORD_1 src1_sel:DWORD
	v_mul_f16_sdwa v38, v5, v13 dst_sel:DWORD dst_unused:UNUSED_PAD src0_sel:WORD_1 src1_sel:DWORD
	;; [unrolled: 1-line block ×3, first 2 shown]
	v_mul_f16_sdwa v46, v17, v9 dst_sel:DWORD dst_unused:UNUSED_PAD src0_sel:DWORD src1_sel:WORD_1
	v_mul_f16_sdwa v49, v34, v11 dst_sel:DWORD dst_unused:UNUSED_PAD src0_sel:DWORD src1_sel:WORD_1
	;; [unrolled: 1-line block ×5, first 2 shown]
	v_fma_f16 v15, v7, v15, -v41
	v_fma_f16 v17, v17, v9, -v45
	v_mul_f16_sdwa v35, v4, v28 dst_sel:DWORD dst_unused:UNUSED_PAD src0_sel:WORD_1 src1_sel:DWORD
	v_mul_f16_sdwa v36, v4, v12 dst_sel:DWORD dst_unused:UNUSED_PAD src0_sel:WORD_1 src1_sel:DWORD
	;; [unrolled: 1-line block ×6, first 2 shown]
	v_fma_f16 v13, v5, v13, -v37
	v_fma_f16 v5, v5, v29, v38
	v_fma_f16 v20, v20, v11, -v49
	v_fma_f16 v11, v34, v11, v50
	v_fma_f16 v24, v24, v21, -v51
	v_fma_f16 v21, v27, v21, v52
	v_add_f16_e32 v27, v15, v17
	v_fma_f16 v12, v4, v12, -v35
	v_fma_f16 v4, v4, v28, v36
	v_fma_f16 v14, v6, v14, -v39
	v_fma_f16 v6, v6, v30, v40
	v_fma_f16 v7, v7, v31, v42
	v_fma_f16 v16, v8, v16, -v43
	v_fma_f16 v8, v8, v32, v44
	v_fma_f16 v9, v26, v9, v46
	v_sub_f16_e32 v28, v5, v11
	v_sub_f16_e32 v30, v13, v15
	;; [unrolled: 1-line block ×3, first 2 shown]
	v_add_f16_e32 v32, v13, v20
	v_fma_f16 v27, v27, -0.5, v23
	v_add_f16_e32 v26, v23, v13
	v_sub_f16_e32 v29, v7, v9
	v_add_f16_e32 v30, v30, v31
	v_fma_f16 v23, v32, -0.5, v23
	v_fma_f16 v31, v28, s0, v27
	v_fma_f16 v27, v28, s5, v27
	v_mul_f16_sdwa v47, v33, v10 dst_sel:DWORD dst_unused:UNUSED_PAD src0_sel:DWORD src1_sel:WORD_1
	v_mul_f16_sdwa v48, v19, v10 dst_sel:DWORD dst_unused:UNUSED_PAD src0_sel:DWORD src1_sel:WORD_1
	v_add_f16_e32 v26, v26, v15
	v_fma_f16 v32, v29, s5, v23
	v_fma_f16 v31, v29, s1, v31
	;; [unrolled: 1-line block ×4, first 2 shown]
	v_add_f16_e32 v29, v7, v9
	v_fma_f16 v19, v19, v10, -v47
	v_fma_f16 v10, v33, v10, v48
	v_sub_f16_e32 v33, v15, v13
	v_sub_f16_e32 v34, v17, v20
	v_add_f16_e32 v26, v26, v17
	v_fma_f16 v29, v29, -0.5, v25
	v_sub_f16_e32 v13, v13, v20
	v_add_f16_e32 v26, v26, v20
	v_fma_f16 v32, v28, s1, v32
	v_fma_f16 v31, v30, s4, v31
	;; [unrolled: 1-line block ×3, first 2 shown]
	v_add_f16_e32 v30, v33, v34
	v_fma_f16 v23, v28, s6, v23
	v_fma_f16 v20, v13, s5, v29
	v_sub_f16_e32 v15, v15, v17
	v_fma_f16 v32, v30, s4, v32
	v_fma_f16 v23, v30, s4, v23
	;; [unrolled: 1-line block ×3, first 2 shown]
	v_sub_f16_e32 v20, v5, v7
	v_sub_f16_e32 v30, v11, v9
	v_fma_f16 v29, v13, s0, v29
	v_add_f16_e32 v28, v25, v5
	v_add_f16_e32 v20, v20, v30
	v_fma_f16 v29, v15, s1, v29
	v_add_f16_e32 v28, v28, v7
	v_fma_f16 v17, v20, s4, v17
	v_fma_f16 v20, v20, s4, v29
	v_add_f16_e32 v29, v5, v11
	v_add_f16_e32 v28, v28, v9
	v_fma_f16 v25, v29, -0.5, v25
	v_add_f16_e32 v28, v28, v11
	v_fma_f16 v29, v15, s0, v25
	v_sub_f16_e32 v5, v7, v5
	v_sub_f16_e32 v7, v9, v11
	v_fma_f16 v9, v15, s5, v25
	v_add_f16_e32 v11, v16, v19
	v_fma_f16 v29, v13, s6, v29
	v_add_f16_e32 v5, v5, v7
	v_fma_f16 v9, v13, s1, v9
	v_fma_f16 v11, v11, -0.5, v12
	v_sub_f16_e32 v13, v6, v21
	v_fma_f16 v7, v5, s4, v29
	v_fma_f16 v15, v13, s0, v11
	v_sub_f16_e32 v25, v8, v10
	v_sub_f16_e32 v29, v14, v16
	;; [unrolled: 1-line block ×3, first 2 shown]
	v_fma_f16 v11, v13, s5, v11
	v_fma_f16 v15, v25, s1, v15
	v_add_f16_e32 v29, v29, v30
	v_fma_f16 v11, v25, s6, v11
	v_fma_f16 v15, v29, s4, v15
	;; [unrolled: 1-line block ×3, first 2 shown]
	v_add_f16_e32 v29, v14, v24
	v_fma_f16 v5, v5, s4, v9
	v_add_f16_e32 v9, v12, v14
	v_fma_f16 v12, v29, -0.5, v12
	v_add_f16_e32 v9, v9, v16
	v_fma_f16 v29, v25, s5, v12
	v_fma_f16 v12, v25, s0, v12
	v_add_f16_e32 v25, v8, v10
	v_add_f16_e32 v9, v9, v19
	v_sub_f16_e32 v30, v16, v14
	v_sub_f16_e32 v33, v19, v24
	v_fma_f16 v25, v25, -0.5, v4
	v_sub_f16_e32 v14, v14, v24
	v_add_f16_e32 v9, v9, v24
	v_fma_f16 v29, v13, s1, v29
	v_add_f16_e32 v30, v30, v33
	v_fma_f16 v12, v13, s6, v12
	v_fma_f16 v24, v14, s5, v25
	v_sub_f16_e32 v16, v16, v19
	v_fma_f16 v29, v30, s4, v29
	v_fma_f16 v12, v30, s4, v12
	;; [unrolled: 1-line block ×3, first 2 shown]
	v_sub_f16_e32 v24, v6, v8
	v_sub_f16_e32 v30, v21, v10
	v_fma_f16 v25, v14, s0, v25
	v_add_f16_e32 v24, v24, v30
	v_fma_f16 v25, v16, s1, v25
	v_fma_f16 v19, v24, s4, v19
	;; [unrolled: 1-line block ×3, first 2 shown]
	v_add_f16_e32 v25, v6, v21
	v_add_f16_e32 v13, v4, v6
	v_fma_f16 v4, v25, -0.5, v4
	v_add_f16_e32 v13, v13, v8
	v_fma_f16 v25, v16, s0, v4
	v_sub_f16_e32 v6, v8, v6
	v_sub_f16_e32 v8, v10, v21
	v_fma_f16 v25, v14, s6, v25
	v_add_f16_e32 v6, v6, v8
	v_fma_f16 v4, v16, s5, v4
	v_add_f16_e32 v13, v13, v10
	v_fma_f16 v8, v6, s4, v25
	v_fma_f16 v4, v14, s1, v4
	v_mul_f16_e32 v10, 0x38b4, v19
	v_fma_f16 v4, v6, s4, v4
	v_fma_f16 v10, v15, s7, v10
	v_mul_f16_e32 v16, 0x3b9c, v8
	v_mul_f16_e32 v25, 0x34f2, v12
	;; [unrolled: 1-line block ×3, first 2 shown]
	v_add_f16_e32 v13, v13, v21
	v_fma_f16 v16, v29, s4, v16
	v_fma_f16 v25, v4, s0, -v25
	v_mul_f16_e32 v33, 0x3a79, v11
	v_fma_f16 v15, v19, s7, v15
	v_mul_f16_e32 v29, 0xbb9c, v29
	v_mul_f16_e32 v4, 0x34f2, v4
	v_add_f16_e32 v6, v26, v9
	v_add_f16_e32 v14, v31, v10
	v_fma_f16 v33, v24, s1, -v33
	v_add_f16_e32 v35, v28, v13
	v_add_f16_e32 v19, v17, v15
	v_fma_f16 v8, v8, s4, v29
	v_fma_f16 v4, v12, s5, -v4
	v_mul_f16_e32 v24, 0x3a79, v24
	v_add_f16_e32 v21, v32, v16
	v_add_f16_e32 v30, v23, v25
	;; [unrolled: 1-line block ×4, first 2 shown]
	v_fma_f16 v11, v11, s6, -v24
	v_sub_f16_e32 v7, v7, v8
	v_pack_b32_f16 v6, v6, v35
	v_pack_b32_f16 v8, v14, v19
	v_add_f16_e32 v34, v27, v33
	v_add_f16_e32 v24, v20, v11
	v_sub_f16_e32 v9, v26, v9
	v_sub_f16_e32 v13, v28, v13
	ds_write2_b32 v1, v6, v8 offset1:39
	v_pack_b32_f16 v6, v21, v29
	v_pack_b32_f16 v8, v30, v12
	v_sub_f16_e32 v10, v31, v10
	v_sub_f16_e32 v16, v32, v16
	;; [unrolled: 1-line block ×3, first 2 shown]
	ds_write2_b32 v1, v6, v8 offset0:78 offset1:117
	v_pack_b32_f16 v6, v34, v24
	v_pack_b32_f16 v8, v9, v13
	v_sub_f16_e32 v23, v23, v25
	v_sub_f16_e32 v25, v27, v33
	;; [unrolled: 1-line block ×4, first 2 shown]
	ds_write2_b32 v1, v6, v8 offset0:156 offset1:195
	v_pack_b32_f16 v6, v10, v15
	v_pack_b32_f16 v7, v16, v7
	v_add_u32_e32 v1, 0x200, v1
	ds_write2_b32 v1, v6, v7 offset0:106 offset1:145
	v_pack_b32_f16 v1, v23, v4
	v_pack_b32_f16 v4, v25, v5
	ds_write2_b32 v22, v1, v4 offset0:56 offset1:95
	s_waitcnt lgkmcnt(0)
	s_barrier
	s_and_saveexec_b64 s[0:1], vcc
	s_cbranch_execz .LBB0_24
; %bb.23:
	v_lshl_add_u32 v6, v0, 2, v18
	v_mov_b32_e32 v1, 0
	ds_read2_b32 v[4:5], v6 offset1:39
	v_mov_b32_e32 v7, s3
	v_add_co_u32_e32 v8, vcc, s2, v2
	v_addc_co_u32_e32 v7, vcc, v7, v3, vcc
	v_lshlrev_b64 v[2:3], 2, v[0:1]
	v_add_co_u32_e32 v2, vcc, v8, v2
	v_addc_co_u32_e32 v3, vcc, v7, v3, vcc
	s_waitcnt lgkmcnt(0)
	global_store_dword v[2:3], v4, off
	v_add_u32_e32 v2, 39, v0
	v_mov_b32_e32 v3, v1
	v_lshlrev_b64 v[2:3], 2, v[2:3]
	v_add_co_u32_e32 v2, vcc, v8, v2
	v_addc_co_u32_e32 v3, vcc, v7, v3, vcc
	global_store_dword v[2:3], v5, off
	v_add_u32_e32 v2, 0x4e, v0
	v_mov_b32_e32 v3, v1
	ds_read2_b32 v[4:5], v6 offset0:78 offset1:117
	v_lshlrev_b64 v[2:3], 2, v[2:3]
	v_add_co_u32_e32 v2, vcc, v8, v2
	v_addc_co_u32_e32 v3, vcc, v7, v3, vcc
	s_waitcnt lgkmcnt(0)
	global_store_dword v[2:3], v4, off
	v_add_u32_e32 v2, 0x75, v0
	v_mov_b32_e32 v3, v1
	v_lshlrev_b64 v[2:3], 2, v[2:3]
	v_add_co_u32_e32 v2, vcc, v8, v2
	v_addc_co_u32_e32 v3, vcc, v7, v3, vcc
	global_store_dword v[2:3], v5, off
	v_add_u32_e32 v2, 0x9c, v0
	v_mov_b32_e32 v3, v1
	ds_read2_b32 v[4:5], v6 offset0:156 offset1:195
	v_lshlrev_b64 v[2:3], 2, v[2:3]
	v_add_co_u32_e32 v2, vcc, v8, v2
	v_addc_co_u32_e32 v3, vcc, v7, v3, vcc
	s_waitcnt lgkmcnt(0)
	global_store_dword v[2:3], v4, off
	v_add_u32_e32 v2, 0xc3, v0
	v_mov_b32_e32 v3, v1
	v_lshlrev_b64 v[2:3], 2, v[2:3]
	v_add_u32_e32 v4, 0x200, v6
	v_add_co_u32_e32 v2, vcc, v8, v2
	v_addc_co_u32_e32 v3, vcc, v7, v3, vcc
	global_store_dword v[2:3], v5, off
	v_add_u32_e32 v2, 0xea, v0
	v_mov_b32_e32 v3, v1
	ds_read2_b32 v[4:5], v4 offset0:106 offset1:145
	v_lshlrev_b64 v[2:3], 2, v[2:3]
	v_add_co_u32_e32 v2, vcc, v8, v2
	v_addc_co_u32_e32 v3, vcc, v7, v3, vcc
	s_waitcnt lgkmcnt(0)
	global_store_dword v[2:3], v4, off
	v_add_u32_e32 v2, 0x111, v0
	v_mov_b32_e32 v3, v1
	v_lshlrev_b64 v[2:3], 2, v[2:3]
	v_add_u32_e32 v4, 0x400, v6
	v_add_co_u32_e32 v2, vcc, v8, v2
	v_addc_co_u32_e32 v3, vcc, v7, v3, vcc
	global_store_dword v[2:3], v5, off
	v_add_u32_e32 v2, 0x138, v0
	v_mov_b32_e32 v3, v1
	v_lshlrev_b64 v[2:3], 2, v[2:3]
	ds_read2_b32 v[4:5], v4 offset0:56 offset1:95
	v_add_u32_e32 v0, 0x15f, v0
	v_add_co_u32_e32 v2, vcc, v8, v2
	v_lshlrev_b64 v[0:1], 2, v[0:1]
	v_addc_co_u32_e32 v3, vcc, v7, v3, vcc
	v_add_co_u32_e32 v0, vcc, v8, v0
	v_addc_co_u32_e32 v1, vcc, v7, v1, vcc
	s_waitcnt lgkmcnt(0)
	global_store_dword v[2:3], v4, off
	global_store_dword v[0:1], v5, off
.LBB0_24:
	s_endpgm
	.section	.rodata,"a",@progbits
	.p2align	6, 0x0
	.amdhsa_kernel fft_rtc_fwd_len390_factors_13_3_10_wgs_117_tpt_39_half_ip_CI_unitstride_sbrr_C2R_dirReg
		.amdhsa_group_segment_fixed_size 0
		.amdhsa_private_segment_fixed_size 0
		.amdhsa_kernarg_size 88
		.amdhsa_user_sgpr_count 6
		.amdhsa_user_sgpr_private_segment_buffer 1
		.amdhsa_user_sgpr_dispatch_ptr 0
		.amdhsa_user_sgpr_queue_ptr 0
		.amdhsa_user_sgpr_kernarg_segment_ptr 1
		.amdhsa_user_sgpr_dispatch_id 0
		.amdhsa_user_sgpr_flat_scratch_init 0
		.amdhsa_user_sgpr_private_segment_size 0
		.amdhsa_uses_dynamic_stack 0
		.amdhsa_system_sgpr_private_segment_wavefront_offset 0
		.amdhsa_system_sgpr_workgroup_id_x 1
		.amdhsa_system_sgpr_workgroup_id_y 0
		.amdhsa_system_sgpr_workgroup_id_z 0
		.amdhsa_system_sgpr_workgroup_info 0
		.amdhsa_system_vgpr_workitem_id 0
		.amdhsa_next_free_vgpr 97
		.amdhsa_next_free_sgpr 30
		.amdhsa_reserve_vcc 1
		.amdhsa_reserve_flat_scratch 0
		.amdhsa_float_round_mode_32 0
		.amdhsa_float_round_mode_16_64 0
		.amdhsa_float_denorm_mode_32 3
		.amdhsa_float_denorm_mode_16_64 3
		.amdhsa_dx10_clamp 1
		.amdhsa_ieee_mode 1
		.amdhsa_fp16_overflow 0
		.amdhsa_exception_fp_ieee_invalid_op 0
		.amdhsa_exception_fp_denorm_src 0
		.amdhsa_exception_fp_ieee_div_zero 0
		.amdhsa_exception_fp_ieee_overflow 0
		.amdhsa_exception_fp_ieee_underflow 0
		.amdhsa_exception_fp_ieee_inexact 0
		.amdhsa_exception_int_div_zero 0
	.end_amdhsa_kernel
	.text
.Lfunc_end0:
	.size	fft_rtc_fwd_len390_factors_13_3_10_wgs_117_tpt_39_half_ip_CI_unitstride_sbrr_C2R_dirReg, .Lfunc_end0-fft_rtc_fwd_len390_factors_13_3_10_wgs_117_tpt_39_half_ip_CI_unitstride_sbrr_C2R_dirReg
                                        ; -- End function
	.section	.AMDGPU.csdata,"",@progbits
; Kernel info:
; codeLenInByte = 8540
; NumSgprs: 34
; NumVgprs: 97
; ScratchSize: 0
; MemoryBound: 0
; FloatMode: 240
; IeeeMode: 1
; LDSByteSize: 0 bytes/workgroup (compile time only)
; SGPRBlocks: 4
; VGPRBlocks: 24
; NumSGPRsForWavesPerEU: 34
; NumVGPRsForWavesPerEU: 97
; Occupancy: 2
; WaveLimiterHint : 1
; COMPUTE_PGM_RSRC2:SCRATCH_EN: 0
; COMPUTE_PGM_RSRC2:USER_SGPR: 6
; COMPUTE_PGM_RSRC2:TRAP_HANDLER: 0
; COMPUTE_PGM_RSRC2:TGID_X_EN: 1
; COMPUTE_PGM_RSRC2:TGID_Y_EN: 0
; COMPUTE_PGM_RSRC2:TGID_Z_EN: 0
; COMPUTE_PGM_RSRC2:TIDIG_COMP_CNT: 0
	.type	__hip_cuid_3332ee98d5fa5775,@object ; @__hip_cuid_3332ee98d5fa5775
	.section	.bss,"aw",@nobits
	.globl	__hip_cuid_3332ee98d5fa5775
__hip_cuid_3332ee98d5fa5775:
	.byte	0                               ; 0x0
	.size	__hip_cuid_3332ee98d5fa5775, 1

	.ident	"AMD clang version 19.0.0git (https://github.com/RadeonOpenCompute/llvm-project roc-6.4.0 25133 c7fe45cf4b819c5991fe208aaa96edf142730f1d)"
	.section	".note.GNU-stack","",@progbits
	.addrsig
	.addrsig_sym __hip_cuid_3332ee98d5fa5775
	.amdgpu_metadata
---
amdhsa.kernels:
  - .args:
      - .actual_access:  read_only
        .address_space:  global
        .offset:         0
        .size:           8
        .value_kind:     global_buffer
      - .offset:         8
        .size:           8
        .value_kind:     by_value
      - .actual_access:  read_only
        .address_space:  global
        .offset:         16
        .size:           8
        .value_kind:     global_buffer
      - .actual_access:  read_only
        .address_space:  global
        .offset:         24
        .size:           8
        .value_kind:     global_buffer
      - .offset:         32
        .size:           8
        .value_kind:     by_value
      - .actual_access:  read_only
        .address_space:  global
        .offset:         40
        .size:           8
        .value_kind:     global_buffer
      - .actual_access:  read_only
        .address_space:  global
        .offset:         48
        .size:           8
        .value_kind:     global_buffer
      - .offset:         56
        .size:           4
        .value_kind:     by_value
      - .actual_access:  read_only
        .address_space:  global
        .offset:         64
        .size:           8
        .value_kind:     global_buffer
      - .actual_access:  read_only
        .address_space:  global
        .offset:         72
        .size:           8
        .value_kind:     global_buffer
      - .address_space:  global
        .offset:         80
        .size:           8
        .value_kind:     global_buffer
    .group_segment_fixed_size: 0
    .kernarg_segment_align: 8
    .kernarg_segment_size: 88
    .language:       OpenCL C
    .language_version:
      - 2
      - 0
    .max_flat_workgroup_size: 117
    .name:           fft_rtc_fwd_len390_factors_13_3_10_wgs_117_tpt_39_half_ip_CI_unitstride_sbrr_C2R_dirReg
    .private_segment_fixed_size: 0
    .sgpr_count:     34
    .sgpr_spill_count: 0
    .symbol:         fft_rtc_fwd_len390_factors_13_3_10_wgs_117_tpt_39_half_ip_CI_unitstride_sbrr_C2R_dirReg.kd
    .uniform_work_group_size: 1
    .uses_dynamic_stack: false
    .vgpr_count:     97
    .vgpr_spill_count: 0
    .wavefront_size: 64
amdhsa.target:   amdgcn-amd-amdhsa--gfx906
amdhsa.version:
  - 1
  - 2
...

	.end_amdgpu_metadata
